;; amdgpu-corpus repo=zjin-lcf/HeCBench kind=compiled arch=gfx1201 opt=O3
	.amdgcn_target "amdgcn-amd-amdhsa--gfx1201"
	.amdhsa_code_object_version 6
	.text
	.protected	_Z18kernel_512_one_128PKfS0_S0_S0_Pf ; -- Begin function _Z18kernel_512_one_128PKfS0_S0_S0_Pf
	.globl	_Z18kernel_512_one_128PKfS0_S0_S0_Pf
	.p2align	8
	.type	_Z18kernel_512_one_128PKfS0_S0_S0_Pf,@function
_Z18kernel_512_one_128PKfS0_S0_S0_Pf:   ; @_Z18kernel_512_one_128PKfS0_S0_S0_Pf
; %bb.0:
	v_and_b32_e32 v3, 0x3ff, v0
	v_bfe_u32 v4, v0, 10, 10
	s_clause 0x1
	s_load_b256 s[4:11], s[0:1], 0x0
	s_load_b64 s[0:1], s[0:1], 0x20
	s_mov_b32 s3, 0
	v_lshl_add_u32 v0, v4, 7, v3
	v_lshlrev_b32_e32 v3, 2, v3
	s_delay_alu instid0(VALU_DEP_2) | instskip(SKIP_2) | instid1(VALU_DEP_3)
	v_lshl_add_u32 v1, ttmp9, 11, v0
	v_lshlrev_b32_e32 v5, 2, v0
	v_mov_b32_e32 v13, 0
	v_ashrrev_i32_e32 v2, 31, v1
	s_delay_alu instid0(VALU_DEP_1) | instskip(SKIP_1) | instid1(VALU_DEP_1)
	v_lshlrev_b64_e32 v[1:2], 2, v[1:2]
	s_wait_kmcnt 0x0
	v_add_co_u32 v1, vcc_lo, s4, v1
	s_delay_alu instid0(VALU_DEP_1)
	v_add_co_ci_u32_e64 v2, null, s5, v2, vcc_lo
	s_mov_b32 s4, 0
	s_clause 0x3
	global_load_b32 v7, v[1:2], off
	global_load_b32 v8, v[1:2], off offset:2048
	global_load_b32 v9, v[1:2], off offset:4096
	;; [unrolled: 1-line block ×3, first 2 shown]
	s_clause 0x1
	global_load_b32 v11, v3, s[8:9]
	global_load_b32 v12, v3, s[10:11]
	v_add_nc_u32_e32 v1, 0, v3
	v_add_nc_u32_e32 v2, 0, v5
	v_add_co_u32 v5, s2, s6, v5
	v_lshl_add_u32 v3, v4, 11, 0
	s_delay_alu instid0(VALU_DEP_4)
	v_add_nc_u32_e32 v4, 0x2000, v1
	v_add_co_ci_u32_e64 v6, null, s7, 0, s2
	s_wait_loadcnt 0x4
	ds_store_2addr_stride64_b32 v2, v7, v8 offset1:8
	s_wait_loadcnt 0x2
	ds_store_2addr_stride64_b32 v2, v9, v10 offset0:16 offset1:24
	s_wait_loadcnt 0x0
	ds_store_2addr_stride64_b32 v1, v11, v12 offset0:168 offset1:170
	ds_store_b32 v2, v13 offset:40960
	s_wait_dscnt 0x0
	s_barrier_signal -1
	s_barrier_wait -1
	global_inv scope:SCOPE_SE
.LBB0_1:                                ; =>This Loop Header: Depth=1
                                        ;     Child Loop BB0_2 Depth 2
	s_wait_alu 0xfffe
	s_lshl_b32 s2, s4, 7
	s_wait_alu 0xfffe
	s_lshl_b64 s[6:7], s[2:3], 2
	s_mov_b32 s2, 0
	s_wait_alu 0xfffe
	v_add_co_u32 v7, vcc_lo, v5, s6
	s_wait_alu 0xfffd
	v_add_co_ci_u32_e64 v8, null, s7, v6, vcc_lo
	s_clause 0xf
	global_load_b32 v9, v[7:8], off
	global_load_b32 v10, v[7:8], off offset:2048
	global_load_b32 v11, v[7:8], off offset:4096
	;; [unrolled: 1-line block ×15, first 2 shown]
	v_mov_b32_e32 v8, v4
	s_wait_loadcnt 0xe
	ds_store_2addr_stride64_b32 v2, v9, v10 offset0:32 offset1:40
	s_wait_loadcnt 0xc
	ds_store_2addr_stride64_b32 v2, v11, v12 offset0:48 offset1:56
	;; [unrolled: 2-line block ×8, first 2 shown]
	s_wait_dscnt 0x0
	s_barrier_signal -1
	s_barrier_wait -1
	global_inv scope:SCOPE_SE
	ds_load_b32 v7, v2 offset:40960
.LBB0_2:                                ;   Parent Loop BB0_1 Depth=1
                                        ; =>  This Inner Loop Header: Depth=2
	v_add_nc_u32_e32 v9, s2, v3
	s_add_co_i32 s2, s2, 64
	ds_load_b32 v10, v8
	ds_load_b32 v11, v9
	s_wait_alu 0xfffe
	s_cmp_eq_u32 s2, 0x100
	s_wait_dscnt 0x0
	v_fmac_f32_e32 v7, v11, v10
	ds_store_b32 v2, v7 offset:40960
	ds_load_b32 v10, v9 offset:4
	ds_load_b32 v11, v8 offset:512
	s_wait_dscnt 0x0
	v_fmac_f32_e32 v7, v10, v11
	ds_store_b32 v2, v7 offset:40960
	ds_load_b32 v10, v9 offset:8
	ds_load_b32 v11, v8 offset:1024
	;; [unrolled: 5-line block ×15, first 2 shown]
	s_wait_dscnt 0x0
	v_dual_fmac_f32 v7, v9, v10 :: v_dual_add_nc_u32 v8, 0x2000, v8
	ds_store_b32 v2, v7 offset:40960
	s_cbranch_scc0 .LBB0_2
; %bb.3:                                ;   in Loop: Header=BB0_1 Depth=1
	v_add_nc_u32_e32 v3, 0x100, v3
	s_add_co_i32 s2, s4, 64
	s_cmp_gt_u32 s4, 0x1bf
	s_wait_alu 0xfffe
	s_mov_b32 s4, s2
	s_wait_loadcnt_dscnt 0x0
	s_barrier_signal -1
	s_barrier_wait -1
	global_inv scope:SCOPE_SE
	s_cbranch_scc0 .LBB0_1
; %bb.4:
	ds_load_2addr_stride64_b32 v[3:4], v1 offset0:168 offset1:170
	ds_load_b32 v1, v2 offset:40960
	s_lshl_b32 s2, ttmp9, 9
	v_lshlrev_b32_e32 v0, 2, v0
	s_wait_alu 0xfffe
	s_ashr_i32 s3, s2, 31
	s_wait_alu 0xfffe
	s_lshl_b64 s[2:3], s[2:3], 2
	s_wait_alu 0xfffe
	s_add_nc_u64 s[0:1], s[0:1], s[2:3]
	s_wait_dscnt 0x0
	v_fmac_f32_e32 v3, v4, v1
	s_delay_alu instid0(VALU_DEP_1)
	v_max_num_f32_e32 v1, 0, v3
	global_store_b32 v0, v1, s[0:1]
	s_endpgm
	.section	.rodata,"a",@progbits
	.p2align	6, 0x0
	.amdhsa_kernel _Z18kernel_512_one_128PKfS0_S0_S0_Pf
		.amdhsa_group_segment_fixed_size 0
		.amdhsa_private_segment_fixed_size 0
		.amdhsa_kernarg_size 40
		.amdhsa_user_sgpr_count 2
		.amdhsa_user_sgpr_dispatch_ptr 0
		.amdhsa_user_sgpr_queue_ptr 0
		.amdhsa_user_sgpr_kernarg_segment_ptr 1
		.amdhsa_user_sgpr_dispatch_id 0
		.amdhsa_user_sgpr_private_segment_size 0
		.amdhsa_wavefront_size32 1
		.amdhsa_uses_dynamic_stack 0
		.amdhsa_enable_private_segment 0
		.amdhsa_system_sgpr_workgroup_id_x 1
		.amdhsa_system_sgpr_workgroup_id_y 0
		.amdhsa_system_sgpr_workgroup_id_z 0
		.amdhsa_system_sgpr_workgroup_info 0
		.amdhsa_system_vgpr_workitem_id 1
		.amdhsa_next_free_vgpr 24
		.amdhsa_next_free_sgpr 12
		.amdhsa_reserve_vcc 1
		.amdhsa_float_round_mode_32 0
		.amdhsa_float_round_mode_16_64 0
		.amdhsa_float_denorm_mode_32 3
		.amdhsa_float_denorm_mode_16_64 3
		.amdhsa_fp16_overflow 0
		.amdhsa_workgroup_processor_mode 1
		.amdhsa_memory_ordered 1
		.amdhsa_forward_progress 1
		.amdhsa_inst_pref_size 11
		.amdhsa_round_robin_scheduling 0
		.amdhsa_exception_fp_ieee_invalid_op 0
		.amdhsa_exception_fp_denorm_src 0
		.amdhsa_exception_fp_ieee_div_zero 0
		.amdhsa_exception_fp_ieee_overflow 0
		.amdhsa_exception_fp_ieee_underflow 0
		.amdhsa_exception_fp_ieee_inexact 0
		.amdhsa_exception_int_div_zero 0
	.end_amdhsa_kernel
	.text
.Lfunc_end0:
	.size	_Z18kernel_512_one_128PKfS0_S0_S0_Pf, .Lfunc_end0-_Z18kernel_512_one_128PKfS0_S0_S0_Pf
                                        ; -- End function
	.set _Z18kernel_512_one_128PKfS0_S0_S0_Pf.num_vgpr, 24
	.set _Z18kernel_512_one_128PKfS0_S0_S0_Pf.num_agpr, 0
	.set _Z18kernel_512_one_128PKfS0_S0_S0_Pf.numbered_sgpr, 12
	.set _Z18kernel_512_one_128PKfS0_S0_S0_Pf.num_named_barrier, 0
	.set _Z18kernel_512_one_128PKfS0_S0_S0_Pf.private_seg_size, 0
	.set _Z18kernel_512_one_128PKfS0_S0_S0_Pf.uses_vcc, 1
	.set _Z18kernel_512_one_128PKfS0_S0_S0_Pf.uses_flat_scratch, 0
	.set _Z18kernel_512_one_128PKfS0_S0_S0_Pf.has_dyn_sized_stack, 0
	.set _Z18kernel_512_one_128PKfS0_S0_S0_Pf.has_recursion, 0
	.set _Z18kernel_512_one_128PKfS0_S0_S0_Pf.has_indirect_call, 0
	.section	.AMDGPU.csdata,"",@progbits
; Kernel info:
; codeLenInByte = 1356
; TotalNumSgprs: 14
; NumVgprs: 24
; ScratchSize: 0
; MemoryBound: 1
; FloatMode: 240
; IeeeMode: 1
; LDSByteSize: 0 bytes/workgroup (compile time only)
; SGPRBlocks: 0
; VGPRBlocks: 2
; NumSGPRsForWavesPerEU: 14
; NumVGPRsForWavesPerEU: 24
; Occupancy: 16
; WaveLimiterHint : 1
; COMPUTE_PGM_RSRC2:SCRATCH_EN: 0
; COMPUTE_PGM_RSRC2:USER_SGPR: 2
; COMPUTE_PGM_RSRC2:TRAP_HANDLER: 0
; COMPUTE_PGM_RSRC2:TGID_X_EN: 1
; COMPUTE_PGM_RSRC2:TGID_Y_EN: 0
; COMPUTE_PGM_RSRC2:TGID_Z_EN: 0
; COMPUTE_PGM_RSRC2:TIDIG_COMP_CNT: 1
	.text
	.protected	_Z18kernel_128_one_512PKfS0_S0_S0_Pf ; -- Begin function _Z18kernel_128_one_512PKfS0_S0_S0_Pf
	.globl	_Z18kernel_128_one_512PKfS0_S0_S0_Pf
	.p2align	8
	.type	_Z18kernel_128_one_512PKfS0_S0_S0_Pf,@function
_Z18kernel_128_one_512PKfS0_S0_S0_Pf:   ; @_Z18kernel_128_one_512PKfS0_S0_S0_Pf
; %bb.0:
	v_dual_mov_b32 v41, 0 :: v_dual_and_b32 v2, 0x3ff, v0
	v_bfe_u32 v9, v0, 10, 10
	s_load_b256 s[4:11], s[0:1], 0x0
	s_lshl_b32 s2, ttmp7, 7
	s_load_b64 s[0:1], s[0:1], 0x20
	v_add_nc_u32_e32 v0, s2, v2
	v_lshl_add_u32 v10, v9, 7, v2
	s_mov_b32 s3, 0
	s_delay_alu instid0(VALU_DEP_2) | instskip(NEXT) | instid1(VALU_DEP_2)
	v_ashrrev_i32_e32 v1, 31, v0
	v_lshl_add_u32 v3, ttmp9, 9, v10
	s_delay_alu instid0(VALU_DEP_2) | instskip(NEXT) | instid1(VALU_DEP_2)
	v_lshlrev_b64_e32 v[5:6], 2, v[0:1]
	v_ashrrev_i32_e32 v4, 31, v3
	s_delay_alu instid0(VALU_DEP_1) | instskip(SKIP_1) | instid1(VALU_DEP_3)
	v_lshlrev_b64_e32 v[3:4], 2, v[3:4]
	s_wait_kmcnt 0x0
	v_add_co_u32 v7, vcc_lo, s8, v5
	s_delay_alu instid0(VALU_DEP_1) | instskip(NEXT) | instid1(VALU_DEP_3)
	v_add_co_ci_u32_e64 v8, null, s9, v6, vcc_lo
	v_add_co_u32 v3, vcc_lo, s4, v3
	s_wait_alu 0xfffd
	v_add_co_ci_u32_e64 v4, null, s5, v4, vcc_lo
	v_add_co_u32 v5, vcc_lo, s10, v5
	s_wait_alu 0xfffd
	v_add_co_ci_u32_e64 v6, null, s11, v6, vcc_lo
	global_load_b32 v38, v[7:8], off
	global_load_b32 v39, v[3:4], off
	;; [unrolled: 1-line block ×3, first 2 shown]
	v_lshlrev_b32_e32 v3, 9, v9
	v_lshl_add_u32 v4, v10, 2, 0
	v_lshl_add_u32 v5, v2, 2, 0
	s_wait_loadcnt 0x1
	ds_store_b32 v4, v39
	s_wait_loadcnt 0x0
	ds_store_2addr_stride64_b32 v5, v38, v40 offset0:144 offset1:146
	ds_store_b32 v4, v41 offset:34816
	v_add_nc_u32_e32 v0, v0, v3
	s_wait_dscnt 0x0
	s_barrier_signal -1
	s_barrier_wait -1
	global_inv scope:SCOPE_SE
	v_add_nc_u32_e32 v6, 0x800, v0
	v_add_nc_u32_e32 v8, 0x1000, v0
	v_ashrrev_i32_e32 v1, 31, v0
	v_add_nc_u32_e32 v10, 0x1800, v0
	v_add_nc_u32_e32 v12, 0x2000, v0
	v_ashrrev_i32_e32 v7, 31, v6
	v_ashrrev_i32_e32 v9, 31, v8
	v_add_nc_u32_e32 v14, 0x2800, v0
	v_lshlrev_b64_e32 v[36:37], 2, v[0:1]
	v_ashrrev_i32_e32 v11, 31, v10
	v_add_nc_u32_e32 v16, 0x3000, v0
	v_lshlrev_b64_e32 v[6:7], 2, v[6:7]
	;; [unrolled: 3-line block ×4, first 2 shown]
	v_add_co_u32 v36, vcc_lo, s6, v36
	v_ashrrev_i32_e32 v17, 31, v16
	v_add_nc_u32_e32 v22, 0x4800, v0
	v_lshlrev_b64_e32 v[12:13], 2, v[12:13]
	s_wait_alu 0xfffd
	v_add_co_ci_u32_e64 v37, null, s7, v37, vcc_lo
	v_add_co_u32 v6, vcc_lo, s6, v6
	v_ashrrev_i32_e32 v19, 31, v18
	v_add_nc_u32_e32 v24, 0x5000, v0
	v_lshlrev_b64_e32 v[14:15], 2, v[14:15]
	s_wait_alu 0xfffd
	v_add_co_ci_u32_e64 v7, null, s7, v7, vcc_lo
	;; [unrolled: 6-line block ×7, first 2 shown]
	v_add_co_u32 v18, vcc_lo, s6, v18
	v_ashrrev_i32_e32 v31, 31, v30
	v_lshlrev_b64_e32 v[26:27], 2, v[26:27]
	s_wait_alu 0xfffd
	v_add_co_ci_u32_e64 v19, null, s7, v19, vcc_lo
	v_add_co_u32 v20, vcc_lo, s6, v20
	v_ashrrev_i32_e32 v33, 31, v32
	v_lshlrev_b64_e32 v[28:29], 2, v[28:29]
	s_wait_alu 0xfffd
	v_add_co_ci_u32_e64 v21, null, s7, v21, vcc_lo
	;; [unrolled: 5-line block ×3, first 2 shown]
	v_add_co_u32 v24, vcc_lo, s6, v24
	v_lshlrev_b64_e32 v[32:33], 2, v[32:33]
	s_wait_alu 0xfffd
	v_add_co_ci_u32_e64 v25, null, s7, v25, vcc_lo
	v_add_co_u32 v26, vcc_lo, s6, v26
	v_lshlrev_b64_e32 v[34:35], 2, v[34:35]
	s_wait_alu 0xfffd
	v_add_co_ci_u32_e64 v27, null, s7, v27, vcc_lo
	v_add_co_u32 v28, vcc_lo, s6, v28
	s_wait_alu 0xfffd
	v_add_co_ci_u32_e64 v29, null, s7, v29, vcc_lo
	v_add_co_u32 v30, vcc_lo, s6, v30
	;; [unrolled: 3-line block ×4, first 2 shown]
	s_wait_alu 0xfffd
	v_add_co_ci_u32_e64 v35, null, s7, v35, vcc_lo
	s_clause 0xf
	global_load_b32 v1, v[36:37], off
	global_load_b32 v6, v[6:7], off
	;; [unrolled: 1-line block ×16, first 2 shown]
	s_wait_loadcnt 0xe
	ds_store_2addr_stride64_b32 v4, v1, v6 offset0:8 offset1:16
	s_wait_loadcnt 0xc
	ds_store_2addr_stride64_b32 v4, v7, v8 offset0:24 offset1:32
	;; [unrolled: 2-line block ×8, first 2 shown]
	s_wait_dscnt 0x0
	s_barrier_signal -1
	s_barrier_wait -1
	global_inv scope:SCOPE_SE
	ds_load_b32 v6, v4 offset:34816
	v_add_nc_u32_e32 v1, 0x800, v5
	s_delay_alu instid0(VALU_DEP_1)
	v_dual_mov_b32 v8, v1 :: v_dual_add_nc_u32 v7, 0, v3
.LBB1_1:                                ; =>This Inner Loop Header: Depth=1
	s_wait_alu 0xfffe
	s_delay_alu instid0(VALU_DEP_1)
	v_add_nc_u32_e32 v9, s3, v7
	s_add_co_i32 s3, s3, 64
	ds_load_b32 v10, v8
	ds_load_b32 v11, v9
	s_wait_alu 0xfffe
	s_cmp_eq_u32 s3, 0x100
	s_wait_dscnt 0x0
	v_fmac_f32_e32 v6, v11, v10
	ds_store_b32 v4, v6 offset:34816
	ds_load_b32 v10, v9 offset:4
	ds_load_b32 v11, v8 offset:512
	s_wait_dscnt 0x0
	v_fmac_f32_e32 v6, v10, v11
	ds_store_b32 v4, v6 offset:34816
	ds_load_b32 v10, v9 offset:8
	ds_load_b32 v11, v8 offset:1024
	;; [unrolled: 5-line block ×15, first 2 shown]
	v_add_nc_u32_e32 v8, 0x2000, v8
	s_wait_dscnt 0x0
	v_fmac_f32_e32 v6, v9, v10
	ds_store_b32 v4, v6 offset:34816
	s_cbranch_scc0 .LBB1_1
; %bb.2:
	v_add_nc_u32_e32 v6, 0x8000, v0
	v_add_nc_u32_e32 v8, 0x8800, v0
	;; [unrolled: 1-line block ×5, first 2 shown]
	v_ashrrev_i32_e32 v7, 31, v6
	v_ashrrev_i32_e32 v9, 31, v8
	;; [unrolled: 1-line block ×3, first 2 shown]
	v_add_nc_u32_e32 v16, 0xa800, v0
	v_ashrrev_i32_e32 v13, 31, v12
	v_lshlrev_b64_e32 v[6:7], 2, v[6:7]
	v_lshlrev_b64_e32 v[8:9], 2, v[8:9]
	v_add_nc_u32_e32 v18, 0xb000, v0
	v_ashrrev_i32_e32 v15, 31, v14
	v_lshlrev_b64_e32 v[10:11], 2, v[10:11]
	v_add_nc_u32_e32 v20, 0xb800, v0
	v_ashrrev_i32_e32 v17, 31, v16
	v_add_co_u32 v6, vcc_lo, s6, v6
	v_lshlrev_b64_e32 v[12:13], 2, v[12:13]
	v_ashrrev_i32_e32 v19, 31, v18
	s_wait_alu 0xfffd
	v_add_co_ci_u32_e64 v7, null, s7, v7, vcc_lo
	v_add_co_u32 v8, vcc_lo, s6, v8
	v_lshlrev_b64_e32 v[14:15], 2, v[14:15]
	v_ashrrev_i32_e32 v21, 31, v20
	s_wait_alu 0xfffd
	v_add_co_ci_u32_e64 v9, null, s7, v9, vcc_lo
	v_add_co_u32 v10, vcc_lo, s6, v10
	v_lshlrev_b64_e32 v[16:17], 2, v[16:17]
	s_wait_alu 0xfffd
	v_add_co_ci_u32_e64 v11, null, s7, v11, vcc_lo
	v_add_co_u32 v12, vcc_lo, s6, v12
	v_lshlrev_b64_e32 v[18:19], 2, v[18:19]
	;; [unrolled: 4-line block ×3, first 2 shown]
	s_wait_alu 0xfffd
	v_add_co_ci_u32_e64 v15, null, s7, v15, vcc_lo
	v_add_co_u32 v16, vcc_lo, s6, v16
	v_add_nc_u32_e32 v22, 0xc000, v0
	s_wait_alu 0xfffd
	v_add_co_ci_u32_e64 v17, null, s7, v17, vcc_lo
	v_add_co_u32 v18, vcc_lo, s6, v18
	v_add_nc_u32_e32 v24, 0xc800, v0
	;; [unrolled: 4-line block ×3, first 2 shown]
	v_ashrrev_i32_e32 v23, 31, v22
	s_wait_loadcnt_dscnt 0x0
	s_barrier_signal -1
	s_barrier_wait -1
	global_inv scope:SCOPE_SE
	s_wait_alu 0xfffd
	v_add_co_ci_u32_e64 v21, null, s7, v21, vcc_lo
	s_clause 0x7
	global_load_b32 v28, v[6:7], off
	global_load_b32 v29, v[8:9], off
	;; [unrolled: 1-line block ×8, first 2 shown]
	v_add_nc_u32_e32 v8, 0xd800, v0
	v_ashrrev_i32_e32 v25, 31, v24
	v_add_nc_u32_e32 v14, 0xe000, v0
	v_ashrrev_i32_e32 v27, 31, v26
	v_lshlrev_b64_e32 v[22:23], 2, v[22:23]
	v_add_nc_u32_e32 v16, 0xe800, v0
	v_ashrrev_i32_e32 v9, 31, v8
	v_lshlrev_b64_e32 v[6:7], 2, v[24:25]
	;; [unrolled: 3-line block ×3, first 2 shown]
	v_add_nc_u32_e32 v20, 0xf800, v0
	v_ashrrev_i32_e32 v17, 31, v16
	v_add_co_u32 v10, vcc_lo, s6, v22
	v_lshlrev_b64_e32 v[8:9], 2, v[8:9]
	v_ashrrev_i32_e32 v19, 31, v18
	s_wait_alu 0xfffd
	v_add_co_ci_u32_e64 v11, null, s7, v23, vcc_lo
	v_add_co_u32 v6, vcc_lo, s6, v6
	v_lshlrev_b64_e32 v[14:15], 2, v[14:15]
	v_ashrrev_i32_e32 v21, 31, v20
	s_wait_alu 0xfffd
	v_add_co_ci_u32_e64 v7, null, s7, v7, vcc_lo
	v_add_co_u32 v12, vcc_lo, s6, v12
	v_lshlrev_b64_e32 v[16:17], 2, v[16:17]
	s_wait_alu 0xfffd
	v_add_co_ci_u32_e64 v13, null, s7, v13, vcc_lo
	v_add_co_u32 v8, vcc_lo, s6, v8
	v_lshlrev_b64_e32 v[18:19], 2, v[18:19]
	;; [unrolled: 4-line block ×3, first 2 shown]
	s_wait_alu 0xfffd
	v_add_co_ci_u32_e64 v15, null, s7, v15, vcc_lo
	v_add_co_u32 v16, vcc_lo, s6, v16
	s_wait_alu 0xfffd
	v_add_co_ci_u32_e64 v17, null, s7, v17, vcc_lo
	v_add_co_u32 v18, vcc_lo, s6, v18
	;; [unrolled: 3-line block ×3, first 2 shown]
	s_wait_alu 0xfffd
	v_add_co_ci_u32_e64 v21, null, s7, v21, vcc_lo
	s_clause 0x7
	global_load_b32 v0, v[10:11], off
	global_load_b32 v6, v[6:7], off
	;; [unrolled: 1-line block ×8, first 2 shown]
	s_mov_b32 s3, 0
	s_wait_loadcnt 0xe
	ds_store_2addr_stride64_b32 v4, v28, v29 offset0:8 offset1:16
	s_wait_loadcnt 0xc
	ds_store_2addr_stride64_b32 v4, v30, v31 offset0:24 offset1:32
	;; [unrolled: 2-line block ×8, first 2 shown]
	s_wait_dscnt 0x0
	s_barrier_signal -1
	s_barrier_wait -1
	global_inv scope:SCOPE_SE
	ds_load_b32 v0, v4 offset:34816
	v_add3_u32 v6, v3, 0, 0x100
.LBB1_3:                                ; =>This Inner Loop Header: Depth=1
	s_wait_alu 0xfffe
	s_delay_alu instid0(VALU_DEP_1)
	v_add_nc_u32_e32 v7, s3, v6
	s_add_co_i32 s3, s3, 64
	ds_load_b32 v8, v1
	ds_load_b32 v9, v7
	s_wait_alu 0xfffe
	s_cmp_lg_u32 s3, 0x100
	s_wait_dscnt 0x0
	v_fmac_f32_e32 v0, v9, v8
	ds_store_b32 v4, v0 offset:34816
	ds_load_b32 v8, v7 offset:4
	ds_load_b32 v9, v1 offset:512
	s_wait_dscnt 0x0
	v_fmac_f32_e32 v0, v8, v9
	ds_store_b32 v4, v0 offset:34816
	ds_load_b32 v8, v7 offset:8
	ds_load_b32 v9, v1 offset:1024
	;; [unrolled: 5-line block ×15, first 2 shown]
	s_wait_dscnt 0x0
	v_dual_fmac_f32 v0, v7, v8 :: v_dual_add_nc_u32 v1, 0x2000, v1
	ds_store_b32 v4, v0 offset:34816
	s_cbranch_scc1 .LBB1_3
; %bb.4:
	s_wait_loadcnt_dscnt 0x0
	s_barrier_signal -1
	s_barrier_wait -1
	global_inv scope:SCOPE_SE
	ds_load_2addr_stride64_b32 v[0:1], v5 offset0:144 offset1:146
	ds_load_b32 v4, v4 offset:34816
	s_lshl_b32 s4, ttmp9, 11
	s_ashr_i32 s3, s2, 31
	s_wait_alu 0xfffe
	s_ashr_i32 s5, s4, 31
	s_lshl_b64 s[2:3], s[2:3], 2
	s_wait_alu 0xfffe
	s_lshl_b64 s[4:5], s[4:5], 2
	s_wait_alu 0xfffe
	s_add_nc_u64 s[0:1], s[0:1], s[4:5]
	s_wait_alu 0xfffe
	s_add_nc_u64 s[0:1], s[0:1], s[2:3]
	s_wait_dscnt 0x0
	v_fmac_f32_e32 v0, v1, v4
	v_add_lshl_u32 v1, v3, v2, 2
	global_store_b32 v1, v0, s[0:1]
	s_endpgm
	.section	.rodata,"a",@progbits
	.p2align	6, 0x0
	.amdhsa_kernel _Z18kernel_128_one_512PKfS0_S0_S0_Pf
		.amdhsa_group_segment_fixed_size 0
		.amdhsa_private_segment_fixed_size 0
		.amdhsa_kernarg_size 40
		.amdhsa_user_sgpr_count 2
		.amdhsa_user_sgpr_dispatch_ptr 0
		.amdhsa_user_sgpr_queue_ptr 0
		.amdhsa_user_sgpr_kernarg_segment_ptr 1
		.amdhsa_user_sgpr_dispatch_id 0
		.amdhsa_user_sgpr_private_segment_size 0
		.amdhsa_wavefront_size32 1
		.amdhsa_uses_dynamic_stack 0
		.amdhsa_enable_private_segment 0
		.amdhsa_system_sgpr_workgroup_id_x 1
		.amdhsa_system_sgpr_workgroup_id_y 1
		.amdhsa_system_sgpr_workgroup_id_z 0
		.amdhsa_system_sgpr_workgroup_info 0
		.amdhsa_system_vgpr_workitem_id 1
		.amdhsa_next_free_vgpr 42
		.amdhsa_next_free_sgpr 12
		.amdhsa_reserve_vcc 1
		.amdhsa_float_round_mode_32 0
		.amdhsa_float_round_mode_16_64 0
		.amdhsa_float_denorm_mode_32 3
		.amdhsa_float_denorm_mode_16_64 3
		.amdhsa_fp16_overflow 0
		.amdhsa_workgroup_processor_mode 1
		.amdhsa_memory_ordered 1
		.amdhsa_forward_progress 1
		.amdhsa_inst_pref_size 27
		.amdhsa_round_robin_scheduling 0
		.amdhsa_exception_fp_ieee_invalid_op 0
		.amdhsa_exception_fp_denorm_src 0
		.amdhsa_exception_fp_ieee_div_zero 0
		.amdhsa_exception_fp_ieee_overflow 0
		.amdhsa_exception_fp_ieee_underflow 0
		.amdhsa_exception_fp_ieee_inexact 0
		.amdhsa_exception_int_div_zero 0
	.end_amdhsa_kernel
	.text
.Lfunc_end1:
	.size	_Z18kernel_128_one_512PKfS0_S0_S0_Pf, .Lfunc_end1-_Z18kernel_128_one_512PKfS0_S0_S0_Pf
                                        ; -- End function
	.set _Z18kernel_128_one_512PKfS0_S0_S0_Pf.num_vgpr, 42
	.set _Z18kernel_128_one_512PKfS0_S0_S0_Pf.num_agpr, 0
	.set _Z18kernel_128_one_512PKfS0_S0_S0_Pf.numbered_sgpr, 12
	.set _Z18kernel_128_one_512PKfS0_S0_S0_Pf.num_named_barrier, 0
	.set _Z18kernel_128_one_512PKfS0_S0_S0_Pf.private_seg_size, 0
	.set _Z18kernel_128_one_512PKfS0_S0_S0_Pf.uses_vcc, 1
	.set _Z18kernel_128_one_512PKfS0_S0_S0_Pf.uses_flat_scratch, 0
	.set _Z18kernel_128_one_512PKfS0_S0_S0_Pf.has_dyn_sized_stack, 0
	.set _Z18kernel_128_one_512PKfS0_S0_S0_Pf.has_recursion, 0
	.set _Z18kernel_128_one_512PKfS0_S0_S0_Pf.has_indirect_call, 0
	.section	.AMDGPU.csdata,"",@progbits
; Kernel info:
; codeLenInByte = 3348
; TotalNumSgprs: 14
; NumVgprs: 42
; ScratchSize: 0
; MemoryBound: 0
; FloatMode: 240
; IeeeMode: 1
; LDSByteSize: 0 bytes/workgroup (compile time only)
; SGPRBlocks: 0
; VGPRBlocks: 5
; NumSGPRsForWavesPerEU: 14
; NumVGPRsForWavesPerEU: 42
; Occupancy: 16
; WaveLimiterHint : 0
; COMPUTE_PGM_RSRC2:SCRATCH_EN: 0
; COMPUTE_PGM_RSRC2:USER_SGPR: 2
; COMPUTE_PGM_RSRC2:TRAP_HANDLER: 0
; COMPUTE_PGM_RSRC2:TGID_X_EN: 1
; COMPUTE_PGM_RSRC2:TGID_Y_EN: 1
; COMPUTE_PGM_RSRC2:TGID_Z_EN: 0
; COMPUTE_PGM_RSRC2:TIDIG_COMP_CNT: 1
	.text
	.p2alignl 7, 3214868480
	.fill 96, 4, 3214868480
	.section	.AMDGPU.gpr_maximums,"",@progbits
	.set amdgpu.max_num_vgpr, 0
	.set amdgpu.max_num_agpr, 0
	.set amdgpu.max_num_sgpr, 0
	.text
	.type	__hip_cuid_745781ff1157092f,@object ; @__hip_cuid_745781ff1157092f
	.section	.bss,"aw",@nobits
	.globl	__hip_cuid_745781ff1157092f
__hip_cuid_745781ff1157092f:
	.byte	0                               ; 0x0
	.size	__hip_cuid_745781ff1157092f, 1

	.ident	"AMD clang version 22.0.0git (https://github.com/RadeonOpenCompute/llvm-project roc-7.2.4 26084 f58b06dce1f9c15707c5f808fd002e18c2accf7e)"
	.section	".note.GNU-stack","",@progbits
	.addrsig
	.addrsig_sym __hip_cuid_745781ff1157092f
	.amdgpu_metadata
---
amdhsa.kernels:
  - .args:
      - .actual_access:  read_only
        .address_space:  global
        .offset:         0
        .size:           8
        .value_kind:     global_buffer
      - .actual_access:  read_only
        .address_space:  global
        .offset:         8
        .size:           8
        .value_kind:     global_buffer
      - .actual_access:  read_only
        .address_space:  global
        .offset:         16
        .size:           8
        .value_kind:     global_buffer
      - .actual_access:  read_only
        .address_space:  global
        .offset:         24
        .size:           8
        .value_kind:     global_buffer
      - .actual_access:  write_only
        .address_space:  global
        .offset:         32
        .size:           8
        .value_kind:     global_buffer
    .group_segment_fixed_size: 0
    .kernarg_segment_align: 8
    .kernarg_segment_size: 40
    .language:       OpenCL C
    .language_version:
      - 2
      - 0
    .max_flat_workgroup_size: 1024
    .name:           _Z18kernel_512_one_128PKfS0_S0_S0_Pf
    .private_segment_fixed_size: 0
    .sgpr_count:     14
    .sgpr_spill_count: 0
    .symbol:         _Z18kernel_512_one_128PKfS0_S0_S0_Pf.kd
    .uniform_work_group_size: 1
    .uses_dynamic_stack: false
    .vgpr_count:     24
    .vgpr_spill_count: 0
    .wavefront_size: 32
    .workgroup_processor_mode: 1
  - .args:
      - .actual_access:  read_only
        .address_space:  global
        .offset:         0
        .size:           8
        .value_kind:     global_buffer
      - .actual_access:  read_only
        .address_space:  global
        .offset:         8
        .size:           8
        .value_kind:     global_buffer
      - .actual_access:  read_only
        .address_space:  global
        .offset:         16
        .size:           8
        .value_kind:     global_buffer
      - .actual_access:  read_only
        .address_space:  global
        .offset:         24
        .size:           8
        .value_kind:     global_buffer
      - .actual_access:  write_only
        .address_space:  global
        .offset:         32
        .size:           8
        .value_kind:     global_buffer
    .group_segment_fixed_size: 0
    .kernarg_segment_align: 8
    .kernarg_segment_size: 40
    .language:       OpenCL C
    .language_version:
      - 2
      - 0
    .max_flat_workgroup_size: 1024
    .name:           _Z18kernel_128_one_512PKfS0_S0_S0_Pf
    .private_segment_fixed_size: 0
    .sgpr_count:     14
    .sgpr_spill_count: 0
    .symbol:         _Z18kernel_128_one_512PKfS0_S0_S0_Pf.kd
    .uniform_work_group_size: 1
    .uses_dynamic_stack: false
    .vgpr_count:     42
    .vgpr_spill_count: 0
    .wavefront_size: 32
    .workgroup_processor_mode: 1
amdhsa.target:   amdgcn-amd-amdhsa--gfx1201
amdhsa.version:
  - 1
  - 2
...

	.end_amdgpu_metadata
